;; amdgpu-corpus repo=ROCm/rocFFT kind=compiled arch=gfx1030 opt=O3
	.text
	.amdgcn_target "amdgcn-amd-amdhsa--gfx1030"
	.amdhsa_code_object_version 6
	.protected	fft_rtc_back_len1210_factors_2_5_11_11_wgs_110_tpt_110_halfLds_half_op_CI_CI_unitstride_sbrr_R2C_dirReg ; -- Begin function fft_rtc_back_len1210_factors_2_5_11_11_wgs_110_tpt_110_halfLds_half_op_CI_CI_unitstride_sbrr_R2C_dirReg
	.globl	fft_rtc_back_len1210_factors_2_5_11_11_wgs_110_tpt_110_halfLds_half_op_CI_CI_unitstride_sbrr_R2C_dirReg
	.p2align	8
	.type	fft_rtc_back_len1210_factors_2_5_11_11_wgs_110_tpt_110_halfLds_half_op_CI_CI_unitstride_sbrr_R2C_dirReg,@function
fft_rtc_back_len1210_factors_2_5_11_11_wgs_110_tpt_110_halfLds_half_op_CI_CI_unitstride_sbrr_R2C_dirReg: ; @fft_rtc_back_len1210_factors_2_5_11_11_wgs_110_tpt_110_halfLds_half_op_CI_CI_unitstride_sbrr_R2C_dirReg
; %bb.0:
	s_clause 0x2
	s_load_dwordx4 s[12:15], s[4:5], 0x0
	s_load_dwordx4 s[8:11], s[4:5], 0x58
	;; [unrolled: 1-line block ×3, first 2 shown]
	v_mul_u32_u24_e32 v1, 0x254, v0
	v_mov_b32_e32 v3, 0
	v_add_nc_u32_sdwa v5, s6, v1 dst_sel:DWORD dst_unused:UNUSED_PAD src0_sel:DWORD src1_sel:WORD_1
	v_mov_b32_e32 v1, 0
	v_mov_b32_e32 v6, v3
	v_mov_b32_e32 v2, 0
	s_waitcnt lgkmcnt(0)
	v_cmp_lt_u64_e64 s0, s[14:15], 2
	s_and_b32 vcc_lo, exec_lo, s0
	s_cbranch_vccnz .LBB0_8
; %bb.1:
	s_load_dwordx2 s[0:1], s[4:5], 0x10
	v_mov_b32_e32 v1, 0
	v_mov_b32_e32 v2, 0
	s_add_u32 s2, s18, 8
	s_addc_u32 s3, s19, 0
	s_add_u32 s6, s16, 8
	s_addc_u32 s7, s17, 0
	v_mov_b32_e32 v9, v2
	v_mov_b32_e32 v8, v1
	s_mov_b64 s[22:23], 1
	s_waitcnt lgkmcnt(0)
	s_add_u32 s20, s0, 8
	s_addc_u32 s21, s1, 0
.LBB0_2:                                ; =>This Inner Loop Header: Depth=1
	s_load_dwordx2 s[24:25], s[20:21], 0x0
                                        ; implicit-def: $vgpr12_vgpr13
	s_mov_b32 s0, exec_lo
	s_waitcnt lgkmcnt(0)
	v_or_b32_e32 v4, s25, v6
	v_cmpx_ne_u64_e32 0, v[3:4]
	s_xor_b32 s1, exec_lo, s0
	s_cbranch_execz .LBB0_4
; %bb.3:                                ;   in Loop: Header=BB0_2 Depth=1
	v_cvt_f32_u32_e32 v4, s24
	v_cvt_f32_u32_e32 v7, s25
	s_sub_u32 s0, 0, s24
	s_subb_u32 s26, 0, s25
	v_fmac_f32_e32 v4, 0x4f800000, v7
	v_rcp_f32_e32 v4, v4
	v_mul_f32_e32 v4, 0x5f7ffffc, v4
	v_mul_f32_e32 v7, 0x2f800000, v4
	v_trunc_f32_e32 v7, v7
	v_fmac_f32_e32 v4, 0xcf800000, v7
	v_cvt_u32_f32_e32 v7, v7
	v_cvt_u32_f32_e32 v4, v4
	v_mul_lo_u32 v10, s0, v7
	v_mul_hi_u32 v11, s0, v4
	v_mul_lo_u32 v12, s26, v4
	v_add_nc_u32_e32 v10, v11, v10
	v_mul_lo_u32 v11, s0, v4
	v_add_nc_u32_e32 v10, v10, v12
	v_mul_hi_u32 v12, v4, v11
	v_mul_lo_u32 v13, v4, v10
	v_mul_hi_u32 v14, v4, v10
	v_mul_hi_u32 v15, v7, v11
	v_mul_lo_u32 v11, v7, v11
	v_mul_hi_u32 v16, v7, v10
	v_mul_lo_u32 v10, v7, v10
	v_add_co_u32 v12, vcc_lo, v12, v13
	v_add_co_ci_u32_e32 v13, vcc_lo, 0, v14, vcc_lo
	v_add_co_u32 v11, vcc_lo, v12, v11
	v_add_co_ci_u32_e32 v11, vcc_lo, v13, v15, vcc_lo
	v_add_co_ci_u32_e32 v12, vcc_lo, 0, v16, vcc_lo
	v_add_co_u32 v10, vcc_lo, v11, v10
	v_add_co_ci_u32_e32 v11, vcc_lo, 0, v12, vcc_lo
	v_add_co_u32 v4, vcc_lo, v4, v10
	v_add_co_ci_u32_e32 v7, vcc_lo, v7, v11, vcc_lo
	v_mul_hi_u32 v10, s0, v4
	v_mul_lo_u32 v12, s26, v4
	v_mul_lo_u32 v11, s0, v7
	v_add_nc_u32_e32 v10, v10, v11
	v_mul_lo_u32 v11, s0, v4
	v_add_nc_u32_e32 v10, v10, v12
	v_mul_hi_u32 v12, v4, v11
	v_mul_lo_u32 v13, v4, v10
	v_mul_hi_u32 v14, v4, v10
	v_mul_hi_u32 v15, v7, v11
	v_mul_lo_u32 v11, v7, v11
	v_mul_hi_u32 v16, v7, v10
	v_mul_lo_u32 v10, v7, v10
	v_add_co_u32 v12, vcc_lo, v12, v13
	v_add_co_ci_u32_e32 v13, vcc_lo, 0, v14, vcc_lo
	v_add_co_u32 v11, vcc_lo, v12, v11
	v_add_co_ci_u32_e32 v11, vcc_lo, v13, v15, vcc_lo
	v_add_co_ci_u32_e32 v12, vcc_lo, 0, v16, vcc_lo
	v_add_co_u32 v10, vcc_lo, v11, v10
	v_add_co_ci_u32_e32 v11, vcc_lo, 0, v12, vcc_lo
	v_add_co_u32 v4, vcc_lo, v4, v10
	v_add_co_ci_u32_e32 v7, vcc_lo, v7, v11, vcc_lo
	v_mul_hi_u32 v16, v5, v4
	v_mad_u64_u32 v[12:13], null, v6, v4, 0
	v_mad_u64_u32 v[10:11], null, v5, v7, 0
	;; [unrolled: 1-line block ×3, first 2 shown]
	v_add_co_u32 v4, vcc_lo, v16, v10
	v_add_co_ci_u32_e32 v7, vcc_lo, 0, v11, vcc_lo
	v_add_co_u32 v4, vcc_lo, v4, v12
	v_add_co_ci_u32_e32 v4, vcc_lo, v7, v13, vcc_lo
	v_add_co_ci_u32_e32 v7, vcc_lo, 0, v15, vcc_lo
	v_add_co_u32 v4, vcc_lo, v4, v14
	v_add_co_ci_u32_e32 v7, vcc_lo, 0, v7, vcc_lo
	v_mul_lo_u32 v12, s25, v4
	v_mad_u64_u32 v[10:11], null, s24, v4, 0
	v_mul_lo_u32 v13, s24, v7
	v_sub_co_u32 v10, vcc_lo, v5, v10
	v_add3_u32 v11, v11, v13, v12
	v_sub_nc_u32_e32 v12, v6, v11
	v_subrev_co_ci_u32_e64 v12, s0, s25, v12, vcc_lo
	v_add_co_u32 v13, s0, v4, 2
	v_add_co_ci_u32_e64 v14, s0, 0, v7, s0
	v_sub_co_u32 v15, s0, v10, s24
	v_sub_co_ci_u32_e32 v11, vcc_lo, v6, v11, vcc_lo
	v_subrev_co_ci_u32_e64 v12, s0, 0, v12, s0
	v_cmp_le_u32_e32 vcc_lo, s24, v15
	v_cmp_eq_u32_e64 s0, s25, v11
	v_cndmask_b32_e64 v15, 0, -1, vcc_lo
	v_cmp_le_u32_e32 vcc_lo, s25, v12
	v_cndmask_b32_e64 v16, 0, -1, vcc_lo
	v_cmp_le_u32_e32 vcc_lo, s24, v10
	;; [unrolled: 2-line block ×3, first 2 shown]
	v_cndmask_b32_e64 v17, 0, -1, vcc_lo
	v_cmp_eq_u32_e32 vcc_lo, s25, v12
	v_cndmask_b32_e64 v10, v17, v10, s0
	v_cndmask_b32_e32 v12, v16, v15, vcc_lo
	v_add_co_u32 v15, vcc_lo, v4, 1
	v_add_co_ci_u32_e32 v16, vcc_lo, 0, v7, vcc_lo
	v_cmp_ne_u32_e32 vcc_lo, 0, v12
	v_cndmask_b32_e32 v11, v16, v14, vcc_lo
	v_cndmask_b32_e32 v12, v15, v13, vcc_lo
	v_cmp_ne_u32_e32 vcc_lo, 0, v10
	v_cndmask_b32_e32 v13, v7, v11, vcc_lo
	v_cndmask_b32_e32 v12, v4, v12, vcc_lo
.LBB0_4:                                ;   in Loop: Header=BB0_2 Depth=1
	s_andn2_saveexec_b32 s0, s1
	s_cbranch_execz .LBB0_6
; %bb.5:                                ;   in Loop: Header=BB0_2 Depth=1
	v_cvt_f32_u32_e32 v4, s24
	s_sub_i32 s1, 0, s24
	v_mov_b32_e32 v13, v3
	v_rcp_iflag_f32_e32 v4, v4
	v_mul_f32_e32 v4, 0x4f7ffffe, v4
	v_cvt_u32_f32_e32 v4, v4
	v_mul_lo_u32 v7, s1, v4
	v_mul_hi_u32 v7, v4, v7
	v_add_nc_u32_e32 v4, v4, v7
	v_mul_hi_u32 v4, v5, v4
	v_mul_lo_u32 v7, v4, s24
	v_add_nc_u32_e32 v10, 1, v4
	v_sub_nc_u32_e32 v7, v5, v7
	v_subrev_nc_u32_e32 v11, s24, v7
	v_cmp_le_u32_e32 vcc_lo, s24, v7
	v_cndmask_b32_e32 v7, v7, v11, vcc_lo
	v_cndmask_b32_e32 v4, v4, v10, vcc_lo
	v_cmp_le_u32_e32 vcc_lo, s24, v7
	v_add_nc_u32_e32 v10, 1, v4
	v_cndmask_b32_e32 v12, v4, v10, vcc_lo
.LBB0_6:                                ;   in Loop: Header=BB0_2 Depth=1
	s_or_b32 exec_lo, exec_lo, s0
	v_mul_lo_u32 v4, v13, s24
	v_mul_lo_u32 v7, v12, s25
	s_load_dwordx2 s[0:1], s[6:7], 0x0
	v_mad_u64_u32 v[10:11], null, v12, s24, 0
	s_load_dwordx2 s[24:25], s[2:3], 0x0
	s_add_u32 s22, s22, 1
	s_addc_u32 s23, s23, 0
	s_add_u32 s2, s2, 8
	s_addc_u32 s3, s3, 0
	s_add_u32 s6, s6, 8
	v_add3_u32 v4, v11, v7, v4
	v_sub_co_u32 v5, vcc_lo, v5, v10
	s_addc_u32 s7, s7, 0
	s_add_u32 s20, s20, 8
	v_sub_co_ci_u32_e32 v4, vcc_lo, v6, v4, vcc_lo
	s_addc_u32 s21, s21, 0
	s_waitcnt lgkmcnt(0)
	v_mul_lo_u32 v6, s0, v4
	v_mul_lo_u32 v7, s1, v5
	v_mad_u64_u32 v[1:2], null, s0, v5, v[1:2]
	v_mul_lo_u32 v4, s24, v4
	v_mul_lo_u32 v10, s25, v5
	v_mad_u64_u32 v[8:9], null, s24, v5, v[8:9]
	v_cmp_ge_u64_e64 s0, s[22:23], s[14:15]
	v_add3_u32 v2, v7, v2, v6
	v_add3_u32 v9, v10, v9, v4
	s_and_b32 vcc_lo, exec_lo, s0
	s_cbranch_vccnz .LBB0_9
; %bb.7:                                ;   in Loop: Header=BB0_2 Depth=1
	v_mov_b32_e32 v5, v12
	v_mov_b32_e32 v6, v13
	s_branch .LBB0_2
.LBB0_8:
	v_mov_b32_e32 v9, v2
	v_mov_b32_e32 v13, v6
	;; [unrolled: 1-line block ×4, first 2 shown]
.LBB0_9:
	s_load_dwordx2 s[0:1], s[4:5], 0x28
	v_mul_hi_u32 v3, 0x253c826, v0
	s_lshl_b64 s[4:5], s[14:15], 3
                                        ; implicit-def: $vgpr10
                                        ; implicit-def: $vgpr14
                                        ; implicit-def: $vgpr19
                                        ; implicit-def: $vgpr18
                                        ; implicit-def: $vgpr17
                                        ; implicit-def: $vgpr16
	s_add_u32 s2, s18, s4
	s_addc_u32 s3, s19, s5
	s_waitcnt lgkmcnt(0)
	v_cmp_gt_u64_e32 vcc_lo, s[0:1], v[12:13]
	v_cmp_le_u64_e64 s0, s[0:1], v[12:13]
	s_and_saveexec_b32 s1, s0
	s_xor_b32 s0, exec_lo, s1
; %bb.10:
	v_mul_u32_u24_e32 v1, 0x6e, v3
                                        ; implicit-def: $vgpr3
	v_sub_nc_u32_e32 v10, v0, v1
                                        ; implicit-def: $vgpr0
                                        ; implicit-def: $vgpr1_vgpr2
	v_add_nc_u32_e32 v14, 0x6e, v10
	v_add_nc_u32_e32 v19, 0xdc, v10
	;; [unrolled: 1-line block ×5, first 2 shown]
; %bb.11:
	s_andn2_saveexec_b32 s1, s0
	s_cbranch_execz .LBB0_13
; %bb.12:
	s_add_u32 s4, s16, s4
	s_addc_u32 s5, s17, s5
	v_lshlrev_b64 v[1:2], 2, v[1:2]
	s_load_dwordx2 s[4:5], s[4:5], 0x0
	s_waitcnt lgkmcnt(0)
	v_mul_lo_u32 v6, s5, v12
	v_mul_lo_u32 v7, s4, v13
	v_mad_u64_u32 v[4:5], null, s4, v12, 0
	v_add3_u32 v5, v5, v7, v6
	v_mul_u32_u24_e32 v6, 0x6e, v3
	v_lshlrev_b64 v[3:4], 2, v[4:5]
	v_sub_nc_u32_e32 v10, v0, v6
	v_lshlrev_b32_e32 v6, 2, v10
	v_add_co_u32 v0, s0, s8, v3
	v_add_co_ci_u32_e64 v3, s0, s9, v4, s0
	v_add_nc_u32_e32 v14, 0x6e, v10
	v_add_co_u32 v0, s0, v0, v1
	v_add_co_ci_u32_e64 v1, s0, v3, v2, s0
	v_add_nc_u32_e32 v19, 0xdc, v10
	;; [unrolled: 3-line block ×3, first 2 shown]
	v_add_co_u32 v2, s0, 0x800, v0
	v_add_co_ci_u32_e64 v3, s0, 0, v1, s0
	v_add_co_u32 v4, s0, 0x1000, v0
	v_add_co_ci_u32_e64 v5, s0, 0, v1, s0
	s_clause 0xa
	global_load_dword v7, v[0:1], off
	global_load_dword v11, v[0:1], off offset:440
	global_load_dword v15, v[0:1], off offset:880
	;; [unrolled: 1-line block ×10, first 2 shown]
	v_add_nc_u32_e32 v4, 0, v6
	v_add_nc_u32_e32 v17, 0x1b8, v10
	;; [unrolled: 1-line block ×7, first 2 shown]
	s_waitcnt vmcnt(9)
	ds_write2_b32 v4, v7, v11 offset1:110
	s_waitcnt vmcnt(7)
	ds_write2_b32 v5, v15, v20 offset0:92 offset1:202
	s_waitcnt vmcnt(5)
	ds_write2_b32 v6, v0, v1 offset0:56 offset1:166
	;; [unrolled: 2-line block ×4, first 2 shown]
	s_waitcnt vmcnt(0)
	ds_write_b32 v4, v3 offset:4400
.LBB0_13:
	s_or_b32 exec_lo, exec_lo, s1
	v_lshlrev_b32_e32 v11, 2, v10
	s_load_dwordx2 s[2:3], s[2:3], 0x0
	s_waitcnt lgkmcnt(0)
	s_barrier
	buffer_gl0_inv
	v_add_nc_u32_e32 v26, 0, v11
	v_cmp_gt_u32_e64 s0, 55, v10
	v_lshl_add_u32 v29, v18, 3, 0
	v_lshl_add_u32 v31, v17, 3, 0
	v_add_nc_u32_e32 v0, 0x600, v26
	v_add_nc_u32_e32 v1, 0x1000, v26
	;; [unrolled: 1-line block ×5, first 2 shown]
	ds_read2_b32 v[4:5], v0 offset0:56 offset1:166
	ds_read2_b32 v[6:7], v1 offset0:21 offset1:131
	ds_read2_b32 v[20:21], v26 offset1:110
	ds_read2_b32 v[22:23], v2 offset0:93 offset1:203
	ds_read2_b32 v[24:25], v15 offset0:92 offset1:202
	;; [unrolled: 1-line block ×3, first 2 shown]
	v_lshl_add_u32 v15, v14, 3, 0
	v_lshl_add_u32 v0, v19, 3, 0
	v_add_nc_u32_e32 v1, v26, v11
	s_waitcnt lgkmcnt(0)
	s_barrier
	buffer_gl0_inv
	v_pk_add_f16 v30, v5, v7 neg_lo:[0,1] neg_hi:[0,1]
	v_pk_add_f16 v6, v4, v6 neg_lo:[0,1] neg_hi:[0,1]
	;; [unrolled: 1-line block ×6, first 2 shown]
	v_pk_fma_f16 v27, v5, 2.0, v30 op_sel_hi:[1,0,1] neg_lo:[0,0,1] neg_hi:[0,0,1]
	v_pk_fma_f16 v5, v20, 2.0, v7 op_sel_hi:[1,0,1] neg_lo:[0,0,1] neg_hi:[0,0,1]
	;; [unrolled: 1-line block ×6, first 2 shown]
	ds_write2_b32 v1, v5, v7 offset1:1
	ds_write2_b32 v15, v20, v22 offset1:1
	;; [unrolled: 1-line block ×5, first 2 shown]
	s_and_saveexec_b32 s1, s0
	s_cbranch_execz .LBB0_15
; %bb.14:
	v_lshl_add_u32 v4, v16, 3, 0
	ds_write2_b32 v4, v27, v30 offset1:1
.LBB0_15:
	s_or_b32 exec_lo, exec_lo, s1
	v_lshlrev_b32_e32 v28, 2, v14
	v_add_nc_u32_e32 v4, 0x400, v26
	s_waitcnt lgkmcnt(0)
	s_barrier
	buffer_gl0_inv
	v_sub_nc_u32_e32 v5, v15, v28
	ds_read2_b32 v[6:7], v26 offset1:242
	ds_read2_b32 v[22:23], v2 offset0:82 offset1:214
	ds_read2_b32 v[20:21], v3 offset0:68 offset1:200
	;; [unrolled: 1-line block ×3, first 2 shown]
	ds_read_b32 v35, v5
	ds_read_b32 v37, v26 offset:4312
	v_cmp_gt_u32_e64 s1, 22, v10
	v_lshrrev_b32_e32 v34, 16, v30
                                        ; implicit-def: $vgpr31
                                        ; implicit-def: $vgpr5
                                        ; implicit-def: $vgpr33
                                        ; implicit-def: $vgpr36
                                        ; implicit-def: $vgpr32
	s_and_saveexec_b32 s4, s1
	s_cbranch_execz .LBB0_17
; %bb.16:
	v_lshlrev_b32_e32 v3, 2, v19
	v_add_nc_u32_e32 v2, 0xec0, v26
	v_sub_nc_u32_e32 v1, v1, v11
	v_sub_nc_u32_e32 v0, v0, v3
	ds_read2_b32 v[4:5], v2 offset0:2 offset1:244
	ds_read_b32 v32, v1 offset:2816
	ds_read_b32 v30, v26 offset:1848
	ds_read_b32 v27, v0
	s_waitcnt lgkmcnt(3)
	v_lshrrev_b32_e32 v33, 16, v4
	v_lshrrev_b32_e32 v31, 16, v5
	s_waitcnt lgkmcnt(2)
	v_lshrrev_b32_e32 v36, 16, v32
	s_waitcnt lgkmcnt(1)
	v_lshrrev_b32_e32 v34, 16, v30
.LBB0_17:
	s_or_b32 exec_lo, exec_lo, s4
	v_and_b32_e32 v29, 1, v10
	s_waitcnt lgkmcnt(5)
	v_lshrrev_b32_e32 v41, 16, v7
	s_waitcnt lgkmcnt(2)
	v_lshrrev_b32_e32 v43, 16, v25
	v_lshrrev_b32_e32 v44, 16, v23
	;; [unrolled: 1-line block ×3, first 2 shown]
	v_lshlrev_b32_e32 v0, 4, v29
	v_lshrrev_b32_e32 v46, 16, v24
	v_lshrrev_b32_e32 v47, 16, v22
	;; [unrolled: 1-line block ×3, first 2 shown]
	s_waitcnt lgkmcnt(0)
	v_lshrrev_b32_e32 v49, 16, v37
	global_load_dwordx4 v[0:3], v0, s[12:13]
	v_lshrrev_b32_e32 v38, 16, v6
	v_lshrrev_b32_e32 v39, 16, v35
	;; [unrolled: 1-line block ×4, first 2 shown]
	v_sub_nc_u32_e32 v28, 0, v28
	s_waitcnt vmcnt(0)
	s_barrier
	v_mul_lo_u32 v40, v40, 10
	v_mul_u32_u24_e32 v42, 10, v42
	buffer_gl0_inv
	v_or_b32_e32 v42, v42, v29
	v_or_b32_e32 v40, v40, v29
	v_lshl_add_u32 v42, v42, 2, 0
	v_lshl_add_u32 v40, v40, 2, 0
	v_mul_f16_sdwa v50, v0, v41 dst_sel:DWORD dst_unused:UNUSED_PAD src0_sel:WORD_1 src1_sel:DWORD
	v_mul_f16_sdwa v51, v0, v7 dst_sel:DWORD dst_unused:UNUSED_PAD src0_sel:WORD_1 src1_sel:DWORD
	;; [unrolled: 1-line block ×16, first 2 shown]
	v_fmac_f16_e32 v50, v0, v7
	v_fma_f16 v7, v0, v41, -v51
	v_fmac_f16_e32 v52, v1, v25
	v_fma_f16 v25, v1, v43, -v53
	;; [unrolled: 2-line block ×8, first 2 shown]
	v_add_f16_e32 v41, v6, v50
	v_add_f16_e32 v43, v52, v54
	;; [unrolled: 1-line block ×6, first 2 shown]
	v_sub_f16_e32 v46, v50, v52
	v_sub_f16_e32 v47, v56, v54
	;; [unrolled: 1-line block ×6, first 2 shown]
	v_add_f16_e32 v66, v35, v58
	v_add_f16_e32 v67, v60, v62
	v_add_f16_e32 v75, v39, v24
	v_add_f16_e32 v76, v22, v20
	v_add_f16_e32 v72, v58, v64
	v_add_f16_e32 v80, v24, v37
	v_sub_f16_e32 v44, v7, v21
	v_sub_f16_e32 v45, v25, v23
	;; [unrolled: 1-line block ×4, first 2 shown]
	v_add_f16_e32 v41, v41, v52
	v_fma_f16 v43, -0.5, v43, v6
	v_fmac_f16_e32 v6, -0.5, v48
	v_add_f16_e32 v25, v53, v25
	v_fma_f16 v48, -0.5, v55, v38
	v_sub_f16_e32 v57, v52, v54
	v_fmac_f16_e32 v38, -0.5, v63
	v_sub_f16_e32 v68, v24, v37
	v_sub_f16_e32 v69, v22, v20
	;; [unrolled: 1-line block ×7, first 2 shown]
	v_add_f16_e32 v46, v46, v47
	v_add_f16_e32 v47, v49, v51
	;; [unrolled: 1-line block ×4, first 2 shown]
	v_fma_f16 v52, -0.5, v67, v35
	v_add_f16_e32 v22, v75, v22
	v_fma_f16 v59, -0.5, v76, v39
	v_sub_f16_e32 v65, v23, v21
	v_sub_f16_e32 v77, v60, v62
	v_fmac_f16_e32 v35, -0.5, v72
	v_fmac_f16_e32 v39, -0.5, v80
	v_add_f16_e32 v41, v41, v54
	v_fmamk_f16 v54, v44, 0xbb9c, v43
	v_add_f16_e32 v23, v25, v23
	v_fmamk_f16 v25, v50, 0x3b9c, v48
	v_fmamk_f16 v61, v45, 0x3b9c, v6
	v_fmac_f16_e32 v6, 0xbb9c, v45
	v_fmamk_f16 v63, v57, 0xbb9c, v38
	v_fmac_f16_e32 v38, 0x3b9c, v57
	v_fmac_f16_e32 v43, 0x3b9c, v44
	v_fmac_f16_e32 v48, 0xbb9c, v50
	v_sub_f16_e32 v71, v64, v62
	v_sub_f16_e32 v74, v62, v64
	v_sub_f16_e32 v79, v37, v20
	v_sub_f16_e32 v81, v20, v37
	v_add_f16_e32 v51, v51, v62
	v_fmamk_f16 v62, v68, 0xbb9c, v52
	v_add_f16_e32 v20, v22, v20
	v_fmamk_f16 v22, v58, 0x3b9c, v59
	;; [unrolled: 2-line block ×3, first 2 shown]
	v_fmac_f16_e32 v35, 0xbb9c, v69
	v_fmamk_f16 v66, v77, 0xbb9c, v39
	v_fmac_f16_e32 v39, 0x3b9c, v77
	v_fmac_f16_e32 v52, 0x3b9c, v68
	;; [unrolled: 1-line block ×11, first 2 shown]
	v_add_f16_e32 v53, v70, v71
	v_add_f16_e32 v60, v78, v79
	v_fmac_f16_e32 v62, 0xb8b4, v69
	v_fmac_f16_e32 v22, 0x38b4, v77
	v_add_f16_e32 v55, v73, v74
	v_add_f16_e32 v24, v24, v81
	v_fmac_f16_e32 v65, 0xb8b4, v68
	v_fmac_f16_e32 v35, 0x38b4, v68
	v_fmac_f16_e32 v66, 0x38b4, v58
	v_fmac_f16_e32 v39, 0xb8b4, v58
	v_add_f16_e32 v41, v41, v56
	v_add_f16_e32 v21, v23, v21
	v_fmac_f16_e32 v52, 0x38b4, v69
	v_fmac_f16_e32 v59, 0xb8b4, v77
	;; [unrolled: 6-line block ×3, first 2 shown]
	v_fmac_f16_e32 v63, 0x34f2, v7
	v_fmac_f16_e32 v38, 0x34f2, v7
	;; [unrolled: 1-line block ×12, first 2 shown]
	v_pack_b32_f16 v7, v41, v21
	v_pack_b32_f16 v21, v54, v25
	;; [unrolled: 1-line block ×10, first 2 shown]
	ds_write2_b32 v42, v7, v21 offset1:2
	ds_write2_b32 v42, v23, v6 offset0:4 offset1:6
	ds_write_b32 v42, v24 offset:32
	ds_write2_b32 v40, v20, v22 offset1:2
	ds_write2_b32 v40, v25, v35 offset0:4 offset1:6
	ds_write_b32 v40, v37 offset:32
	s_and_saveexec_b32 s4, s1
	s_cbranch_execz .LBB0_19
; %bb.18:
	v_mul_f16_sdwa v6, v30, v0 dst_sel:DWORD dst_unused:UNUSED_PAD src0_sel:DWORD src1_sel:WORD_1
	v_mul_f16_sdwa v7, v32, v1 dst_sel:DWORD dst_unused:UNUSED_PAD src0_sel:DWORD src1_sel:WORD_1
	;; [unrolled: 1-line block ×8, first 2 shown]
	v_fma_f16 v6, v34, v0, -v6
	v_fma_f16 v7, v36, v1, -v7
	;; [unrolled: 1-line block ×3, first 2 shown]
	v_fmac_f16_e32 v22, v32, v1
	v_fmac_f16_e32 v23, v4, v2
	;; [unrolled: 1-line block ×4, first 2 shown]
	v_fma_f16 v2, v31, v3, -v20
	v_sub_f16_e32 v4, v6, v7
	v_lshrrev_b32_e32 v1, 16, v27
	v_sub_f16_e32 v33, v24, v22
	v_sub_f16_e32 v34, v25, v23
	;; [unrolled: 1-line block ×3, first 2 shown]
	v_add_f16_e32 v0, v7, v21
	v_sub_f16_e32 v31, v22, v23
	v_add_f16_e32 v37, v27, v24
	v_sub_f16_e32 v30, v6, v2
	v_add_f16_e32 v4, v4, v20
	v_add_f16_e32 v20, v33, v34
	;; [unrolled: 1-line block ×4, first 2 shown]
	v_fma_f16 v0, -0.5, v0, v1
	v_sub_f16_e32 v36, v7, v21
	v_sub_f16_e32 v6, v7, v6
	v_fmac_f16_e32 v1, -0.5, v33
	v_add_f16_e32 v33, v34, v7
	v_sub_f16_e32 v7, v21, v2
	v_sub_f16_e32 v5, v24, v25
	v_add_f16_e32 v34, v37, v22
	v_fmamk_f16 v37, v31, 0x3b9c, v1
	v_fmac_f16_e32 v1, 0xbb9c, v31
	v_add_f16_e32 v3, v22, v23
	v_add_f16_e32 v6, v6, v7
	;; [unrolled: 1-line block ×3, first 2 shown]
	v_fmac_f16_e32 v37, 0xb8b4, v5
	v_fmac_f16_e32 v1, 0x38b4, v5
	v_fma_f16 v3, -0.5, v3, v27
	v_fmamk_f16 v32, v5, 0x3b9c, v0
	v_fmac_f16_e32 v27, -0.5, v7
	v_fmac_f16_e32 v37, 0x34f2, v6
	v_fmac_f16_e32 v1, 0x34f2, v6
	v_lshrrev_b32_e32 v6, 1, v19
	v_fmamk_f16 v35, v30, 0xbb9c, v3
	v_fmac_f16_e32 v0, 0xbb9c, v5
	v_sub_f16_e32 v5, v22, v24
	v_sub_f16_e32 v7, v23, v25
	v_fmamk_f16 v22, v36, 0xbb9c, v27
	v_fmac_f16_e32 v27, 0x3b9c, v36
	v_mul_lo_u32 v6, v6, 10
	v_fmac_f16_e32 v3, 0x3b9c, v30
	v_fmac_f16_e32 v32, 0x38b4, v31
	;; [unrolled: 1-line block ×3, first 2 shown]
	v_add_f16_e32 v21, v33, v21
	v_add_f16_e32 v33, v34, v23
	;; [unrolled: 1-line block ×3, first 2 shown]
	v_fmac_f16_e32 v22, 0x38b4, v30
	v_fmac_f16_e32 v27, 0xb8b4, v30
	v_fmac_f16_e32 v0, 0xb8b4, v31
	v_fmac_f16_e32 v3, 0x38b4, v36
	v_fmac_f16_e32 v32, 0x34f2, v4
	v_fmac_f16_e32 v35, 0x34f2, v20
	v_add_f16_e32 v2, v21, v2
	v_add_f16_e32 v21, v33, v25
	v_or_b32_e32 v6, v6, v29
	v_fmac_f16_e32 v22, 0x34f2, v5
	v_fmac_f16_e32 v27, 0x34f2, v5
	;; [unrolled: 1-line block ×4, first 2 shown]
	v_lshl_add_u32 v4, v6, 2, 0
	v_pack_b32_f16 v2, v21, v2
	v_pack_b32_f16 v5, v35, v32
	;; [unrolled: 1-line block ×5, first 2 shown]
	ds_write2_b32 v4, v2, v5 offset1:2
	ds_write2_b32 v4, v1, v6 offset0:4 offset1:6
	ds_write_b32 v4, v0 offset:32
.LBB0_19:
	s_or_b32 exec_lo, exec_lo, s4
	v_and_b32_e32 v0, 0xff, v10
	v_mov_b32_e32 v1, 10
	s_waitcnt lgkmcnt(0)
	s_barrier
	buffer_gl0_inv
	v_mul_lo_u16 v0, 0xcd, v0
	v_add_nc_u32_e32 v31, v15, v28
	v_add_nc_u32_e32 v32, 0xc00, v26
	;; [unrolled: 1-line block ×3, first 2 shown]
	v_lshl_add_u32 v30, v19, 2, 0
	v_lshrrev_b16 v34, 11, v0
	v_lshl_add_u32 v29, v18, 2, 0
	v_lshl_add_u32 v28, v17, 2, 0
	;; [unrolled: 1-line block ×3, first 2 shown]
	v_mov_b32_e32 v42, 0x1b8
	v_mul_lo_u16 v0, v34, 10
	v_mov_b32_e32 v43, 2
	v_mul_u32_u24_e32 v41, 10, v10
	s_add_u32 s4, s12, 0x12e0
	v_mul_u32_u24_sdwa v34, v34, v42 dst_sel:DWORD dst_unused:UNUSED_PAD src0_sel:WORD_0 src1_sel:DWORD
	v_sub_nc_u16 v33, v10, v0
	s_addc_u32 s5, s13, 0
	v_lshlrev_b32_e32 v41, 2, v41
	s_mov_b32 s6, exec_lo
	v_mul_u32_u24_sdwa v0, v33, v1 dst_sel:DWORD dst_unused:UNUSED_PAD src0_sel:BYTE_0 src1_sel:DWORD
	v_lshlrev_b32_sdwa v33, v43, v33 dst_sel:DWORD dst_unused:UNUSED_PAD src0_sel:DWORD src1_sel:BYTE_0
	v_lshlrev_b32_e32 v20, 2, v0
	v_add3_u32 v33, 0, v34, v33
	s_clause 0x2
	global_load_dwordx4 v[0:3], v20, s[12:13] offset:32
	global_load_dwordx4 v[4:7], v20, s[12:13] offset:48
	global_load_dwordx2 v[20:21], v20, s[12:13] offset:64
	ds_read_b32 v35, v26 offset:4400
	ds_read2_b32 v[24:25], v15 offset0:20 offset1:130
	ds_read2_b32 v[22:23], v32 offset0:112 offset1:222
	ds_read_b32 v40, v31
	ds_read_b32 v39, v30
	;; [unrolled: 1-line block ×6, first 2 shown]
	s_waitcnt vmcnt(0) lgkmcnt(0)
	s_barrier
	buffer_gl0_inv
	v_lshrrev_b32_e32 v49, 16, v40
	v_lshrrev_b32_e32 v43, 16, v39
	;; [unrolled: 1-line block ×10, first 2 shown]
	v_mul_f16_sdwa v34, v0, v49 dst_sel:DWORD dst_unused:UNUSED_PAD src0_sel:WORD_1 src1_sel:DWORD
	v_mul_f16_sdwa v53, v0, v40 dst_sel:DWORD dst_unused:UNUSED_PAD src0_sel:WORD_1 src1_sel:DWORD
	;; [unrolled: 1-line block ×4, first 2 shown]
	v_mul_f16_sdwa v66, v47, v7 dst_sel:DWORD dst_unused:UNUSED_PAD src0_sel:DWORD src1_sel:WORD_1
	v_mul_f16_sdwa v68, v48, v20 dst_sel:DWORD dst_unused:UNUSED_PAD src0_sel:DWORD src1_sel:WORD_1
	;; [unrolled: 1-line block ×3, first 2 shown]
	v_fmac_f16_e32 v34, v0, v40
	v_fma_f16 v0, v0, v49, -v53
	v_mul_f16_sdwa v70, v42, v21 dst_sel:DWORD dst_unused:UNUSED_PAD src0_sel:DWORD src1_sel:WORD_1
	v_mul_f16_sdwa v71, v35, v21 dst_sel:DWORD dst_unused:UNUSED_PAD src0_sel:DWORD src1_sel:WORD_1
	v_mul_f16_sdwa v56, v2, v50 dst_sel:DWORD dst_unused:UNUSED_PAD src0_sel:WORD_1 src1_sel:DWORD
	v_mul_f16_sdwa v57, v2, v38 dst_sel:DWORD dst_unused:UNUSED_PAD src0_sel:WORD_1 src1_sel:DWORD
	;; [unrolled: 1-line block ×3, first 2 shown]
	v_mul_f16_sdwa v67, v22, v7 dst_sel:DWORD dst_unused:UNUSED_PAD src0_sel:DWORD src1_sel:WORD_1
	v_fmac_f16_e32 v54, v1, v39
	v_fma_f16 v1, v1, v43, -v55
	v_fmac_f16_e32 v66, v22, v7
	v_fmac_f16_e32 v68, v23, v20
	v_fma_f16 v20, v48, v20, -v69
	v_add_f16_e32 v22, v34, v44
	v_add_f16_sdwa v23, v0, v44 dst_sel:DWORD dst_unused:UNUSED_PAD src0_sel:DWORD src1_sel:WORD_1
	v_mul_f16_sdwa v58, v3, v51 dst_sel:DWORD dst_unused:UNUSED_PAD src0_sel:WORD_1 src1_sel:DWORD
	v_mul_f16_sdwa v59, v3, v37 dst_sel:DWORD dst_unused:UNUSED_PAD src0_sel:WORD_1 src1_sel:DWORD
	;; [unrolled: 1-line block ×3, first 2 shown]
	v_mul_f16_sdwa v62, v45, v5 dst_sel:DWORD dst_unused:UNUSED_PAD src0_sel:DWORD src1_sel:WORD_1
	v_mul_f16_sdwa v63, v24, v5 dst_sel:DWORD dst_unused:UNUSED_PAD src0_sel:DWORD src1_sel:WORD_1
	;; [unrolled: 1-line block ×4, first 2 shown]
	v_fmac_f16_e32 v70, v35, v21
	v_fma_f16 v21, v42, v21, -v71
	v_fmac_f16_e32 v56, v2, v38
	v_fma_f16 v2, v2, v50, -v57
	;; [unrolled: 2-line block ×3, first 2 shown]
	v_add_f16_e32 v36, v1, v20
	v_sub_f16_e32 v38, v1, v20
	v_add_f16_e32 v22, v22, v54
	v_add_f16_e32 v1, v23, v1
	v_fmac_f16_e32 v58, v3, v37
	v_fma_f16 v3, v3, v51, -v59
	v_fma_f16 v4, v4, v52, -v61
	v_fmac_f16_e32 v62, v24, v5
	v_fma_f16 v5, v45, v5, -v63
	v_fmac_f16_e32 v64, v25, v6
	v_fma_f16 v6, v46, v6, -v65
	v_add_f16_e32 v25, v0, v21
	v_sub_f16_e32 v0, v0, v21
	v_sub_f16_e32 v39, v2, v7
	v_add_f16_e32 v42, v2, v7
	v_add_f16_e32 v1, v1, v2
	;; [unrolled: 1-line block ×4, first 2 shown]
	v_sub_f16_e32 v34, v34, v70
	v_add_f16_e32 v35, v54, v68
	v_sub_f16_e32 v37, v54, v68
	v_sub_f16_e32 v45, v3, v6
	v_add_f16_e32 v47, v3, v6
	v_sub_f16_e32 v49, v4, v5
	v_add_f16_e32 v51, v4, v5
	v_mul_f16_e32 v23, 0xb853, v0
	v_mul_f16_e32 v53, 0x3abb, v25
	;; [unrolled: 1-line block ×10, first 2 shown]
	v_add_f16_e32 v2, v2, v58
	v_add_f16_e32 v1, v1, v3
	;; [unrolled: 1-line block ×3, first 2 shown]
	v_sub_f16_e32 v43, v56, v66
	v_add_f16_e32 v46, v58, v64
	v_sub_f16_e32 v48, v58, v64
	v_add_f16_e32 v50, v60, v62
	v_sub_f16_e32 v52, v60, v62
	v_mul_f16_e32 v65, 0xbb47, v38
	v_mul_f16_e32 v67, 0x36a6, v36
	v_mul_f16_e32 v69, 0xba0c, v38
	v_mul_f16_e32 v71, 0xb93d, v36
	v_mul_f16_e32 v72, 0x3482, v38
	v_mul_f16_e32 v73, 0xbbad, v36
	v_mul_f16_e32 v74, 0x3beb, v38
	v_mul_f16_e32 v75, 0xb08e, v36
	v_mul_f16_e32 v38, 0x3853, v38
	v_mul_f16_e32 v36, 0x3abb, v36
	v_mul_f16_e32 v76, 0xbbeb, v39
	v_mul_f16_e32 v77, 0x3482, v39
	v_mul_f16_e32 v78, 0x3b47, v39
	v_mul_f16_e32 v79, 0xb853, v39
	v_mul_f16_e32 v39, 0xba0c, v39
	v_mul_f16_e32 v80, 0xb08e, v42
	v_mul_f16_e32 v81, 0xbbad, v42
	v_mul_f16_e32 v82, 0x36a6, v42
	v_mul_f16_e32 v83, 0x3abb, v42
	v_mul_f16_e32 v42, 0xb93d, v42
	v_mul_f16_e32 v84, 0xba0c, v45
	v_mul_f16_e32 v85, 0x3beb, v45
	v_mul_f16_e32 v86, 0xb853, v45
	v_mul_f16_e32 v87, 0xb482, v45
	v_mul_f16_e32 v45, 0x3b47, v45
	v_mul_f16_e32 v88, 0xb93d, v47
	v_mul_f16_e32 v89, 0xb08e, v47
	v_mul_f16_e32 v90, 0x3abb, v47
	v_mul_f16_e32 v91, 0xbbad, v47
	v_mul_f16_e32 v47, 0x36a6, v47
	v_mul_f16_e32 v92, 0xb482, v49
	v_mul_f16_e32 v93, 0x3853, v49
	v_mul_f16_e32 v94, 0xba0c, v49
	v_mul_f16_e32 v95, 0x3b47, v49
	v_mul_f16_e32 v49, 0xbbeb, v49
	v_mul_f16_e32 v96, 0xbbad, v51
	v_mul_f16_e32 v97, 0x3abb, v51
	v_mul_f16_e32 v98, 0xb93d, v51
	v_mul_f16_e32 v99, 0x36a6, v51
	v_mul_f16_e32 v51, 0xb08e, v51
	v_fmamk_f16 v100, v24, 0x3abb, v23
	v_fmamk_f16 v101, v34, 0x3853, v53
	v_fma_f16 v23, v24, 0x3abb, -v23
	v_fmac_f16_e32 v53, 0xb853, v34
	v_fmamk_f16 v102, v24, 0x36a6, v54
	v_fmamk_f16 v103, v34, 0x3b47, v55
	v_fma_f16 v54, v24, 0x36a6, -v54
	v_fmac_f16_e32 v55, 0xbb47, v34
	;; [unrolled: 4-line block ×5, first 2 shown]
	v_add_f16_e32 v2, v2, v60
	v_add_f16_e32 v1, v1, v4
	v_fmamk_f16 v24, v35, 0x36a6, v65
	v_fma_f16 v34, v35, 0x36a6, -v65
	v_fmamk_f16 v65, v35, 0xb93d, v69
	v_fma_f16 v69, v35, 0xb93d, -v69
	v_fmamk_f16 v110, v35, 0xbbad, v72
	v_fma_f16 v72, v35, 0xbbad, -v72
	v_fmamk_f16 v111, v35, 0xb08e, v74
	v_fma_f16 v74, v35, 0xb08e, -v74
	v_fmamk_f16 v112, v35, 0x3abb, v38
	v_fma_f16 v35, v35, 0x3abb, -v38
	v_fmamk_f16 v38, v37, 0x3b47, v67
	v_fmac_f16_e32 v67, 0xbb47, v37
	v_fmamk_f16 v113, v37, 0x3a0c, v71
	v_fmac_f16_e32 v71, 0xba0c, v37
	v_fmamk_f16 v114, v37, 0xb482, v73
	v_fmac_f16_e32 v73, 0x3482, v37
	v_fmamk_f16 v115, v37, 0xbbeb, v75
	v_fmac_f16_e32 v75, 0x3beb, v37
	v_fmamk_f16 v116, v37, 0xb853, v36
	v_fmac_f16_e32 v36, 0x3853, v37
	v_fmamk_f16 v37, v40, 0xb08e, v76
	v_fma_f16 v76, v40, 0xb08e, -v76
	v_fmamk_f16 v117, v40, 0xbbad, v77
	v_fma_f16 v77, v40, 0xbbad, -v77
	v_fmamk_f16 v118, v40, 0x36a6, v78
	v_fma_f16 v78, v40, 0x36a6, -v78
	v_fmamk_f16 v119, v40, 0x3abb, v79
	v_fma_f16 v79, v40, 0x3abb, -v79
	v_fmamk_f16 v120, v40, 0xb93d, v39
	v_fma_f16 v39, v40, 0xb93d, -v39
	v_fmamk_f16 v22, v43, 0x3beb, v80
	v_fmac_f16_e32 v80, 0xbbeb, v43
	v_fmamk_f16 v40, v43, 0xb482, v81
	v_fmac_f16_e32 v81, 0x3482, v43
	v_fmamk_f16 v56, v43, 0xbb47, v82
	v_fmac_f16_e32 v82, 0x3b47, v43
	v_fmamk_f16 v121, v43, 0x3853, v83
	v_fmac_f16_e32 v83, 0xb853, v43
	v_fmamk_f16 v122, v43, 0x3a0c, v42
	v_fmac_f16_e32 v42, 0xba0c, v43
	;; [unrolled: 20-line block ×4, first 2 shown]
	v_add_f16_e32 v3, v100, v44
	v_add_f16_sdwa v52, v101, v44 dst_sel:DWORD dst_unused:UNUSED_PAD src0_sel:DWORD src1_sel:WORD_1
	v_add_f16_e32 v23, v23, v44
	v_add_f16_sdwa v53, v53, v44 dst_sel:DWORD dst_unused:UNUSED_PAD src0_sel:DWORD src1_sel:WORD_1
	;; [unrolled: 2-line block ×10, first 2 shown]
	v_add_f16_e32 v2, v2, v62
	v_add_f16_e32 v1, v1, v5
	;; [unrolled: 1-line block ×90, first 2 shown]
	v_pack_b32_f16 v3, v3, v4
	v_pack_b32_f16 v4, v7, v22
	;; [unrolled: 1-line block ×11, first 2 shown]
	ds_write2_b32 v33, v4, v7 offset0:20 offset1:30
	ds_write2_b32 v33, v20, v22 offset0:40 offset1:50
	;; [unrolled: 1-line block ×4, first 2 shown]
	ds_write_b32 v33, v5 offset:400
	ds_write2_b32 v33, v1, v3 offset1:10
	s_waitcnt lgkmcnt(0)
	s_barrier
	buffer_gl0_inv
	s_clause 0x2
	global_load_dwordx4 v[0:3], v41, s[12:13] offset:432
	global_load_dwordx4 v[4:7], v41, s[12:13] offset:448
	global_load_dwordx2 v[20:21], v41, s[12:13] offset:464
	ds_read2_b32 v[24:25], v15 offset0:20 offset1:130
	ds_read2_b32 v[22:23], v32 offset0:112 offset1:222
	ds_read_b32 v33, v26 offset:4400
	ds_read_b32 v38, v31
	ds_read_b32 v37, v30
	;; [unrolled: 1-line block ×6, first 2 shown]
	v_add_nc_u32_e32 v39, 0x200, v26
	v_add_nc_u32_e32 v40, 0x600, v26
	s_waitcnt vmcnt(0) lgkmcnt(0)
	s_barrier
	buffer_gl0_inv
	v_lshrrev_b32_e32 v42, 16, v24
	v_lshrrev_b32_e32 v44, 16, v22
	;; [unrolled: 1-line block ×10, first 2 shown]
	v_mul_f16_sdwa v52, v0, v47 dst_sel:DWORD dst_unused:UNUSED_PAD src0_sel:WORD_1 src1_sel:DWORD
	v_mul_f16_sdwa v53, v0, v38 dst_sel:DWORD dst_unused:UNUSED_PAD src0_sel:WORD_1 src1_sel:DWORD
	;; [unrolled: 1-line block ×4, first 2 shown]
	v_mul_f16_sdwa v66, v44, v7 dst_sel:DWORD dst_unused:UNUSED_PAD src0_sel:DWORD src1_sel:WORD_1
	v_mul_f16_sdwa v68, v45, v20 dst_sel:DWORD dst_unused:UNUSED_PAD src0_sel:DWORD src1_sel:WORD_1
	v_mul_f16_sdwa v69, v23, v20 dst_sel:DWORD dst_unused:UNUSED_PAD src0_sel:DWORD src1_sel:WORD_1
	v_fmac_f16_e32 v52, v0, v38
	v_fma_f16 v0, v0, v47, -v53
	v_mul_f16_sdwa v70, v46, v21 dst_sel:DWORD dst_unused:UNUSED_PAD src0_sel:DWORD src1_sel:WORD_1
	v_mul_f16_sdwa v71, v33, v21 dst_sel:DWORD dst_unused:UNUSED_PAD src0_sel:DWORD src1_sel:WORD_1
	v_mul_f16_sdwa v56, v2, v49 dst_sel:DWORD dst_unused:UNUSED_PAD src0_sel:WORD_1 src1_sel:DWORD
	v_mul_f16_sdwa v57, v2, v36 dst_sel:DWORD dst_unused:UNUSED_PAD src0_sel:WORD_1 src1_sel:DWORD
	;; [unrolled: 1-line block ×3, first 2 shown]
	v_mul_f16_sdwa v67, v22, v7 dst_sel:DWORD dst_unused:UNUSED_PAD src0_sel:DWORD src1_sel:WORD_1
	v_fmac_f16_e32 v54, v1, v37
	v_fma_f16 v1, v1, v48, -v55
	v_fmac_f16_e32 v66, v22, v7
	v_fmac_f16_e32 v68, v23, v20
	v_fma_f16 v20, v45, v20, -v69
	v_add_f16_e32 v22, v52, v41
	v_add_f16_sdwa v23, v0, v41 dst_sel:DWORD dst_unused:UNUSED_PAD src0_sel:DWORD src1_sel:WORD_1
	v_mul_f16_sdwa v59, v3, v35 dst_sel:DWORD dst_unused:UNUSED_PAD src0_sel:WORD_1 src1_sel:DWORD
	v_mul_f16_sdwa v60, v4, v51 dst_sel:DWORD dst_unused:UNUSED_PAD src0_sel:WORD_1 src1_sel:DWORD
	;; [unrolled: 1-line block ×3, first 2 shown]
	v_mul_f16_sdwa v62, v42, v5 dst_sel:DWORD dst_unused:UNUSED_PAD src0_sel:DWORD src1_sel:WORD_1
	v_mul_f16_sdwa v63, v24, v5 dst_sel:DWORD dst_unused:UNUSED_PAD src0_sel:DWORD src1_sel:WORD_1
	;; [unrolled: 1-line block ×4, first 2 shown]
	v_fmac_f16_e32 v70, v33, v21
	v_fma_f16 v21, v46, v21, -v71
	v_fmac_f16_e32 v56, v2, v36
	v_fma_f16 v2, v2, v49, -v57
	;; [unrolled: 2-line block ×3, first 2 shown]
	v_add_f16_e32 v35, v1, v20
	v_sub_f16_e32 v37, v1, v20
	v_add_f16_e32 v22, v22, v54
	v_add_f16_e32 v1, v23, v1
	v_fma_f16 v3, v3, v50, -v59
	v_fmac_f16_e32 v60, v4, v34
	v_fma_f16 v4, v4, v51, -v61
	v_fmac_f16_e32 v62, v24, v5
	;; [unrolled: 2-line block ×3, first 2 shown]
	v_fma_f16 v6, v43, v6, -v65
	v_add_f16_e32 v25, v0, v21
	v_sub_f16_e32 v0, v0, v21
	v_sub_f16_e32 v38, v2, v7
	v_add_f16_e32 v43, v2, v7
	v_add_f16_e32 v1, v1, v2
	;; [unrolled: 1-line block ×4, first 2 shown]
	v_sub_f16_e32 v33, v52, v70
	v_add_f16_e32 v34, v54, v68
	v_sub_f16_e32 v36, v54, v68
	v_sub_f16_e32 v45, v3, v6
	v_add_f16_e32 v47, v3, v6
	v_sub_f16_e32 v49, v4, v5
	v_add_f16_e32 v51, v4, v5
	v_mul_f16_e32 v23, 0xb853, v0
	v_mul_f16_e32 v53, 0x3abb, v25
	;; [unrolled: 1-line block ×10, first 2 shown]
	v_add_f16_e32 v2, v2, v58
	v_add_f16_e32 v1, v1, v3
	;; [unrolled: 1-line block ×3, first 2 shown]
	v_sub_f16_e32 v44, v56, v66
	v_add_f16_e32 v46, v58, v64
	v_sub_f16_e32 v48, v58, v64
	v_add_f16_e32 v50, v60, v62
	v_sub_f16_e32 v52, v60, v62
	v_mul_f16_e32 v65, 0xbb47, v37
	v_mul_f16_e32 v67, 0x36a6, v35
	;; [unrolled: 1-line block ×40, first 2 shown]
	v_fmamk_f16 v100, v24, 0x3abb, v23
	v_fmamk_f16 v101, v33, 0x3853, v53
	v_fma_f16 v23, v24, 0x3abb, -v23
	v_fmac_f16_e32 v53, 0xb853, v33
	v_fmamk_f16 v102, v24, 0x36a6, v54
	v_fmamk_f16 v103, v33, 0x3b47, v55
	v_fma_f16 v54, v24, 0x36a6, -v54
	v_fmac_f16_e32 v55, 0xbb47, v33
	;; [unrolled: 4-line block ×5, first 2 shown]
	v_add_f16_e32 v2, v2, v60
	v_add_f16_e32 v1, v1, v4
	v_fmamk_f16 v24, v34, 0x36a6, v65
	v_fmamk_f16 v33, v36, 0x3b47, v67
	v_fma_f16 v65, v34, 0x36a6, -v65
	v_fmac_f16_e32 v67, 0xbb47, v36
	v_fmamk_f16 v110, v34, 0xb93d, v69
	v_fma_f16 v69, v34, 0xb93d, -v69
	v_fmamk_f16 v111, v34, 0xbbad, v72
	v_fma_f16 v72, v34, 0xbbad, -v72
	;; [unrolled: 2-line block ×4, first 2 shown]
	v_fmamk_f16 v37, v36, 0x3a0c, v71
	v_fmac_f16_e32 v71, 0xba0c, v36
	v_fmamk_f16 v114, v36, 0xb482, v73
	v_fmac_f16_e32 v73, 0x3482, v36
	v_fmamk_f16 v115, v36, 0xbbeb, v75
	v_fmac_f16_e32 v75, 0x3beb, v36
	v_fmamk_f16 v116, v36, 0xb853, v35
	v_fmac_f16_e32 v35, 0x3853, v36
	v_fmamk_f16 v36, v42, 0xb08e, v76
	v_fma_f16 v76, v42, 0xb08e, -v76
	v_fmamk_f16 v117, v42, 0xbbad, v77
	v_fma_f16 v77, v42, 0xbbad, -v77
	v_fmamk_f16 v118, v42, 0x36a6, v78
	v_fma_f16 v78, v42, 0x36a6, -v78
	v_fmamk_f16 v119, v42, 0x3abb, v79
	v_fma_f16 v79, v42, 0x3abb, -v79
	v_fmamk_f16 v120, v42, 0xb93d, v38
	v_fma_f16 v38, v42, 0xb93d, -v38
	v_fmamk_f16 v22, v44, 0x3beb, v80
	v_fmac_f16_e32 v80, 0xbbeb, v44
	v_fmamk_f16 v42, v44, 0xb482, v81
	v_fmac_f16_e32 v81, 0x3482, v44
	v_fmamk_f16 v56, v44, 0xbb47, v82
	v_fmac_f16_e32 v82, 0x3b47, v44
	v_fmamk_f16 v121, v44, 0x3853, v83
	v_fmac_f16_e32 v83, 0xb853, v44
	v_fmamk_f16 v122, v44, 0x3a0c, v43
	v_fmac_f16_e32 v43, 0xba0c, v44
	v_fmamk_f16 v44, v46, 0xb93d, v84
	v_fma_f16 v84, v46, 0xb93d, -v84
	v_fmamk_f16 v123, v46, 0xb08e, v85
	v_fma_f16 v85, v46, 0xb08e, -v85
	v_fmamk_f16 v124, v46, 0x3abb, v86
	v_fma_f16 v86, v46, 0x3abb, -v86
	v_fmamk_f16 v125, v46, 0xbbad, v87
	v_fma_f16 v87, v46, 0xbbad, -v87
	v_fmamk_f16 v126, v46, 0x36a6, v45
	v_fma_f16 v45, v46, 0x36a6, -v45
	v_fmamk_f16 v46, v48, 0x3a0c, v88
	v_fmac_f16_e32 v88, 0xba0c, v48
	;; [unrolled: 20-line block ×3, first 2 shown]
	v_fmamk_f16 v135, v52, 0xb853, v97
	v_fmac_f16_e32 v97, 0x3853, v52
	v_fmamk_f16 v136, v52, 0x3a0c, v98
	v_fmac_f16_e32 v98, 0xba0c, v52
	;; [unrolled: 2-line block ×4, first 2 shown]
	v_add_f16_e32 v3, v100, v41
	v_add_f16_sdwa v52, v101, v41 dst_sel:DWORD dst_unused:UNUSED_PAD src0_sel:DWORD src1_sel:WORD_1
	v_add_f16_e32 v23, v23, v41
	v_add_f16_sdwa v53, v53, v41 dst_sel:DWORD dst_unused:UNUSED_PAD src0_sel:DWORD src1_sel:WORD_1
	v_add_f16_e32 v58, v102, v41
	v_add_f16_sdwa v100, v103, v41 dst_sel:DWORD dst_unused:UNUSED_PAD src0_sel:DWORD src1_sel:WORD_1
	v_add_f16_e32 v54, v54, v41
	v_add_f16_sdwa v55, v55, v41 dst_sel:DWORD dst_unused:UNUSED_PAD src0_sel:DWORD src1_sel:WORD_1
	v_add_f16_e32 v101, v104, v41
	v_add_f16_sdwa v102, v105, v41 dst_sel:DWORD dst_unused:UNUSED_PAD src0_sel:DWORD src1_sel:WORD_1
	v_add_f16_e32 v57, v57, v41
	v_add_f16_sdwa v59, v59, v41 dst_sel:DWORD dst_unused:UNUSED_PAD src0_sel:DWORD src1_sel:WORD_1
	v_add_f16_e32 v103, v106, v41
	v_add_f16_sdwa v104, v107, v41 dst_sel:DWORD dst_unused:UNUSED_PAD src0_sel:DWORD src1_sel:WORD_1
	v_add_f16_e32 v61, v61, v41
	v_add_f16_sdwa v63, v63, v41 dst_sel:DWORD dst_unused:UNUSED_PAD src0_sel:DWORD src1_sel:WORD_1
	v_add_f16_e32 v105, v108, v41
	v_add_f16_sdwa v106, v109, v41 dst_sel:DWORD dst_unused:UNUSED_PAD src0_sel:DWORD src1_sel:WORD_1
	v_add_f16_e32 v0, v0, v41
	v_add_f16_sdwa v25, v25, v41 dst_sel:DWORD dst_unused:UNUSED_PAD src0_sel:DWORD src1_sel:WORD_1
	v_add_f16_e32 v2, v2, v62
	v_add_f16_e32 v1, v1, v5
	v_add_f16_e32 v3, v24, v3
	v_add_f16_e32 v4, v33, v52
	v_add_f16_e32 v23, v65, v23
	v_add_f16_e32 v24, v67, v53
	v_add_f16_e32 v33, v110, v58
	v_add_f16_e32 v37, v37, v100
	v_add_f16_e32 v41, v69, v54
	v_add_f16_e32 v52, v71, v55
	v_add_f16_e32 v53, v111, v101
	v_add_f16_e32 v54, v114, v102
	v_add_f16_e32 v55, v72, v57
	v_add_f16_e32 v57, v73, v59
	v_add_f16_e32 v58, v112, v103
	v_add_f16_e32 v59, v115, v104
	v_add_f16_e32 v60, v74, v61
	v_add_f16_e32 v61, v75, v63
	v_add_f16_e32 v63, v113, v105
	v_add_f16_e32 v65, v116, v106
	v_add_f16_e32 v0, v34, v0
	v_add_f16_e32 v25, v35, v25
	v_add_f16_e32 v2, v2, v64
	v_add_f16_e32 v1, v1, v6
	v_add_f16_e32 v3, v36, v3
	v_add_f16_e32 v4, v22, v4
	v_add_f16_e32 v5, v76, v23
	v_add_f16_e32 v22, v80, v24
	v_add_f16_e32 v23, v117, v33
	v_add_f16_e32 v24, v42, v37
	v_add_f16_e32 v33, v77, v41
	v_add_f16_e32 v34, v81, v52
	v_add_f16_e32 v35, v118, v53
	v_add_f16_e32 v36, v56, v54
	v_add_f16_e32 v37, v78, v55
	v_add_f16_e32 v41, v82, v57
	v_add_f16_e32 v42, v119, v58
	v_add_f16_e32 v52, v121, v59
	v_add_f16_e32 v53, v79, v60
	v_add_f16_e32 v54, v83, v61
	v_add_f16_e32 v55, v120, v63
	v_add_f16_e32 v56, v122, v65
	v_add_f16_e32 v0, v38, v0
	v_add_f16_e32 v25, v43, v25
	v_add_f16_e32 v2, v2, v66
	v_add_f16_e32 v1, v1, v7
	v_add_f16_e32 v3, v44, v3
	v_add_f16_e32 v4, v46, v4
	v_add_f16_e32 v6, v88, v22
	v_add_f16_e32 v22, v123, v23
	v_add_f16_e32 v23, v127, v24
	v_add_f16_e32 v24, v85, v33
	v_add_f16_e32 v33, v89, v34
	v_add_f16_e32 v34, v124, v35
	v_add_f16_e32 v35, v128, v36
	v_add_f16_e32 v36, v86, v37
	v_add_f16_e32 v37, v90, v41
	v_add_f16_e32 v38, v125, v42
	v_add_f16_e32 v41, v129, v52
	v_add_f16_e32 v42, v87, v53
	v_add_f16_e32 v43, v91, v54
	v_add_f16_e32 v44, v126, v55
	v_add_f16_e32 v46, v130, v56
	v_add_f16_e32 v0, v45, v0
	v_add_f16_e32 v25, v47, v25
	v_add_f16_e32 v5, v84, v5
	v_add_f16_e32 v2, v2, v68
	v_add_f16_e32 v1, v1, v20
	v_add_f16_e32 v3, v48, v3
	v_add_f16_e32 v4, v50, v4
	v_add_f16_e32 v7, v131, v22
	v_add_f16_e32 v22, v135, v23
	v_add_f16_e32 v23, v93, v24
	v_add_f16_e32 v24, v97, v33
	v_add_f16_e32 v33, v132, v34
	v_add_f16_e32 v34, v136, v35
	v_add_f16_e32 v35, v94, v36
	v_add_f16_e32 v36, v98, v37
	v_add_f16_e32 v37, v133, v38
	v_add_f16_e32 v38, v137, v41
	v_add_f16_e32 v41, v95, v42
	v_add_f16_e32 v42, v99, v43
	v_add_f16_e32 v43, v134, v44
	v_add_f16_e32 v44, v138, v46
	v_add_f16_e32 v0, v49, v0
	v_add_f16_e32 v25, v51, v25
	v_add_f16_e32 v5, v92, v5
	v_add_f16_e32 v6, v96, v6
	v_add_f16_e32 v2, v2, v70
	v_add_f16_e32 v1, v1, v21
	v_pack_b32_f16 v3, v3, v4
	v_pack_b32_f16 v4, v7, v22
	;; [unrolled: 1-line block ×11, first 2 shown]
	ds_write2_b32 v39, v4, v7 offset0:92 offset1:202
	ds_write2_b32 v40, v20, v22 offset0:56 offset1:166
	;; [unrolled: 1-line block ×4, first 2 shown]
	ds_write_b32 v26, v5 offset:4400
	ds_write2_b32 v26, v1, v3 offset1:110
	s_waitcnt lgkmcnt(0)
	s_barrier
	buffer_gl0_inv
	ds_read_b32 v4, v26
	v_sub_nc_u32_e32 v0, 0, v11
                                        ; implicit-def: $vgpr3
                                        ; implicit-def: $vgpr2
                                        ; implicit-def: $vgpr1
	v_cmpx_ne_u32_e32 0, v10
	s_xor_b32 s6, exec_lo, s6
	s_cbranch_execz .LBB0_21
; %bb.20:
	v_mov_b32_e32 v11, 0
	v_lshlrev_b64 v[1:2], 2, v[10:11]
	v_add_co_u32 v1, s1, s4, v1
	v_add_co_ci_u32_e64 v2, s1, s5, v2, s1
	global_load_dword v3, v[1:2], off
	ds_read_b32 v1, v0 offset:4840
	s_waitcnt lgkmcnt(0)
	v_sub_f16_e32 v2, v4, v1
	v_add_f16_sdwa v5, v1, v4 dst_sel:DWORD dst_unused:UNUSED_PAD src0_sel:WORD_1 src1_sel:WORD_1
	v_sub_f16_sdwa v6, v4, v1 dst_sel:DWORD dst_unused:UNUSED_PAD src0_sel:WORD_1 src1_sel:WORD_1
	v_add_f16_e32 v1, v1, v4
	v_mul_f16_e32 v7, 0.5, v2
	v_mul_f16_e32 v4, 0.5, v5
	;; [unrolled: 1-line block ×3, first 2 shown]
	s_waitcnt vmcnt(0)
	v_lshrrev_b32_e32 v2, 16, v3
	v_mul_f16_e32 v6, v2, v7
	v_fma_f16 v11, v4, v2, v5
	v_fma_f16 v5, v4, v2, -v5
	v_fma_f16 v15, 0.5, v1, v6
	v_fma_f16 v6, v1, 0.5, -v6
	v_fma_f16 v1, -v3, v7, v11
	v_fmac_f16_e32 v15, v3, v4
	v_fma_f16 v2, -v3, v4, v6
	v_fma_f16 v3, -v3, v7, v5
                                        ; implicit-def: $vgpr4
	ds_write_b16 v26, v15
.LBB0_21:
	s_andn2_saveexec_b32 s1, s6
	s_cbranch_execz .LBB0_23
; %bb.22:
	v_mov_b32_e32 v1, 0
	s_waitcnt lgkmcnt(0)
	v_add_f16_sdwa v5, v4, v4 dst_sel:DWORD dst_unused:UNUSED_PAD src0_sel:WORD_1 src1_sel:DWORD
	v_sub_f16_sdwa v2, v4, v4 dst_sel:DWORD dst_unused:UNUSED_PAD src0_sel:DWORD src1_sel:WORD_1
	ds_read_u16 v3, v1 offset:2422
	s_waitcnt lgkmcnt(0)
	v_xor_b32_e32 v4, 0x8000, v3
	v_mov_b32_e32 v3, 0
	ds_write_b16 v26, v5
	ds_write_b16 v1, v4 offset:2422
.LBB0_23:
	s_or_b32 exec_lo, exec_lo, s1
	v_mov_b32_e32 v15, 0
	v_perm_b32 v2, v3, v2, 0x5040100
	s_waitcnt lgkmcnt(0)
	v_lshlrev_b64 v[4:5], 2, v[14:15]
	v_mov_b32_e32 v20, v15
	v_add_co_u32 v4, s1, s4, v4
	v_add_co_ci_u32_e64 v5, s1, s5, v5, s1
	global_load_dword v6, v[4:5], off
	v_lshlrev_b64 v[4:5], 2, v[19:20]
	v_mov_b32_e32 v19, v15
	v_add_co_u32 v4, s1, s4, v4
	v_add_co_ci_u32_e64 v5, s1, s5, v5, s1
	global_load_dword v7, v[4:5], off
	;; [unrolled: 5-line block ×3, first 2 shown]
	v_lshlrev_b64 v[4:5], 2, v[17:18]
	v_add_co_u32 v4, s1, s4, v4
	v_add_co_ci_u32_e64 v5, s1, s5, v5, s1
	global_load_dword v4, v[4:5], off
	ds_write_b16 v26, v1 offset:2
	ds_write_b32 v0, v2 offset:4840
	ds_read_b32 v1, v31
	ds_read_b32 v2, v0 offset:4400
	s_waitcnt lgkmcnt(0)
	v_pk_add_f16 v3, v1, v2 neg_lo:[0,1] neg_hi:[0,1]
	v_pk_add_f16 v1, v1, v2
	v_bfi_b32 v2, 0xffff, v3, v1
	v_bfi_b32 v1, 0xffff, v1, v3
	v_pk_mul_f16 v2, v2, 0.5 op_sel_hi:[1,0]
	v_pk_mul_f16 v1, v1, 0.5 op_sel_hi:[1,0]
	s_waitcnt vmcnt(3)
	v_pk_fma_f16 v3, v6, v2, v1 op_sel:[1,0,0]
	v_pk_mul_f16 v5, v6, v2 op_sel_hi:[0,1]
	v_pk_fma_f16 v14, v6, v2, v1 op_sel:[1,0,0] neg_lo:[1,0,0] neg_hi:[1,0,0]
	v_pk_fma_f16 v1, v6, v2, v1 op_sel:[1,0,0] neg_lo:[0,0,1] neg_hi:[0,0,1]
	v_pk_add_f16 v2, v3, v5 op_sel:[0,1] op_sel_hi:[1,0]
	v_pk_add_f16 v3, v3, v5 op_sel:[0,1] op_sel_hi:[1,0] neg_lo:[0,1] neg_hi:[0,1]
	v_pk_add_f16 v6, v14, v5 op_sel:[0,1] op_sel_hi:[1,0] neg_lo:[0,1] neg_hi:[0,1]
	v_pk_add_f16 v1, v1, v5 op_sel:[0,1] op_sel_hi:[1,0] neg_lo:[0,1] neg_hi:[0,1]
	v_bfi_b32 v2, 0xffff, v2, v3
	v_bfi_b32 v1, 0xffff, v6, v1
	ds_write_b32 v31, v2
	ds_write_b32 v0, v1 offset:4400
	ds_read_b32 v1, v30
	ds_read_b32 v2, v0 offset:3960
	s_waitcnt lgkmcnt(0)
	v_pk_add_f16 v3, v1, v2 neg_lo:[0,1] neg_hi:[0,1]
	v_pk_add_f16 v1, v1, v2
	v_bfi_b32 v2, 0xffff, v3, v1
	v_bfi_b32 v1, 0xffff, v1, v3
	v_pk_mul_f16 v2, v2, 0.5 op_sel_hi:[1,0]
	v_pk_mul_f16 v1, v1, 0.5 op_sel_hi:[1,0]
	s_waitcnt vmcnt(2)
	v_pk_mul_f16 v5, v7, v2 op_sel_hi:[0,1]
	v_pk_fma_f16 v3, v7, v2, v1 op_sel:[1,0,0]
	v_pk_fma_f16 v6, v7, v2, v1 op_sel:[1,0,0] neg_lo:[1,0,0] neg_hi:[1,0,0]
	v_pk_fma_f16 v1, v7, v2, v1 op_sel:[1,0,0] neg_lo:[0,0,1] neg_hi:[0,0,1]
	v_pk_add_f16 v2, v3, v5 op_sel:[0,1] op_sel_hi:[1,0]
	v_pk_add_f16 v3, v3, v5 op_sel:[0,1] op_sel_hi:[1,0] neg_lo:[0,1] neg_hi:[0,1]
	v_pk_add_f16 v6, v6, v5 op_sel:[0,1] op_sel_hi:[1,0] neg_lo:[0,1] neg_hi:[0,1]
	v_pk_add_f16 v1, v1, v5 op_sel:[0,1] op_sel_hi:[1,0] neg_lo:[0,1] neg_hi:[0,1]
	v_bfi_b32 v2, 0xffff, v2, v3
	v_bfi_b32 v1, 0xffff, v6, v1
	ds_write_b32 v30, v2
	ds_write_b32 v0, v1 offset:3960
	ds_read_b32 v1, v29
	ds_read_b32 v2, v0 offset:3520
	s_waitcnt lgkmcnt(0)
	v_pk_add_f16 v3, v1, v2 neg_lo:[0,1] neg_hi:[0,1]
	v_pk_add_f16 v1, v1, v2
	v_bfi_b32 v2, 0xffff, v3, v1
	v_bfi_b32 v1, 0xffff, v1, v3
	v_pk_mul_f16 v2, v2, 0.5 op_sel_hi:[1,0]
	v_pk_mul_f16 v1, v1, 0.5 op_sel_hi:[1,0]
	s_waitcnt vmcnt(1)
	v_pk_mul_f16 v5, v11, v2 op_sel_hi:[0,1]
	v_pk_fma_f16 v3, v11, v2, v1 op_sel:[1,0,0]
	;; [unrolled: 22-line block ×3, first 2 shown]
	v_pk_fma_f16 v6, v4, v2, v1 op_sel:[1,0,0] neg_lo:[1,0,0] neg_hi:[1,0,0]
	v_pk_fma_f16 v1, v4, v2, v1 op_sel:[1,0,0] neg_lo:[0,0,1] neg_hi:[0,0,1]
	v_pk_add_f16 v2, v3, v5 op_sel:[0,1] op_sel_hi:[1,0]
	v_pk_add_f16 v3, v3, v5 op_sel:[0,1] op_sel_hi:[1,0] neg_lo:[0,1] neg_hi:[0,1]
	v_pk_add_f16 v4, v6, v5 op_sel:[0,1] op_sel_hi:[1,0] neg_lo:[0,1] neg_hi:[0,1]
	;; [unrolled: 1-line block ×3, first 2 shown]
	v_bfi_b32 v2, 0xffff, v2, v3
	v_bfi_b32 v1, 0xffff, v4, v1
	ds_write_b32 v28, v2
	ds_write_b32 v0, v1 offset:3080
	s_and_saveexec_b32 s1, s0
	s_cbranch_execz .LBB0_25
; %bb.24:
	v_mov_b32_e32 v17, v15
	v_lshlrev_b64 v[1:2], 2, v[16:17]
	v_add_co_u32 v1, s0, s4, v1
	v_add_co_ci_u32_e64 v2, s0, s5, v2, s0
	global_load_dword v1, v[1:2], off
	ds_read_b32 v2, v27
	ds_read_b32 v3, v0 offset:2640
	s_waitcnt lgkmcnt(0)
	v_pk_add_f16 v4, v2, v3 neg_lo:[0,1] neg_hi:[0,1]
	v_pk_add_f16 v2, v2, v3
	v_bfi_b32 v3, 0xffff, v4, v2
	v_bfi_b32 v2, 0xffff, v2, v4
	v_pk_mul_f16 v3, v3, 0.5 op_sel_hi:[1,0]
	v_pk_mul_f16 v2, v2, 0.5 op_sel_hi:[1,0]
	s_waitcnt vmcnt(0)
	v_pk_fma_f16 v4, v1, v3, v2 op_sel:[1,0,0]
	v_pk_mul_f16 v5, v1, v3 op_sel_hi:[0,1]
	v_pk_fma_f16 v6, v1, v3, v2 op_sel:[1,0,0] neg_lo:[1,0,0] neg_hi:[1,0,0]
	v_pk_fma_f16 v1, v1, v3, v2 op_sel:[1,0,0] neg_lo:[0,0,1] neg_hi:[0,0,1]
	v_pk_add_f16 v2, v4, v5 op_sel:[0,1] op_sel_hi:[1,0]
	v_pk_add_f16 v3, v4, v5 op_sel:[0,1] op_sel_hi:[1,0] neg_lo:[0,1] neg_hi:[0,1]
	v_pk_add_f16 v4, v6, v5 op_sel:[0,1] op_sel_hi:[1,0] neg_lo:[0,1] neg_hi:[0,1]
	;; [unrolled: 1-line block ×3, first 2 shown]
	v_bfi_b32 v2, 0xffff, v2, v3
	v_bfi_b32 v1, 0xffff, v4, v1
	ds_write_b32 v27, v2
	ds_write_b32 v0, v1 offset:2640
.LBB0_25:
	s_or_b32 exec_lo, exec_lo, s1
	s_waitcnt lgkmcnt(0)
	s_barrier
	buffer_gl0_inv
	s_and_saveexec_b32 s0, vcc_lo
	s_cbranch_execz .LBB0_28
; %bb.26:
	v_mul_lo_u32 v2, s3, v12
	v_mul_lo_u32 v3, s2, v13
	v_mad_u64_u32 v[0:1], null, s2, v12, 0
	v_lshl_add_u32 v20, v10, 2, 0
	v_mov_b32_e32 v11, 0
	v_add_nc_u32_e32 v4, 0x6e, v10
	v_add_nc_u32_e32 v6, 0xdc, v10
	;; [unrolled: 1-line block ×4, first 2 shown]
	v_add3_u32 v1, v1, v3, v2
	v_lshlrev_b64 v[2:3], 2, v[8:9]
	ds_read2_b32 v[8:9], v20 offset1:110
	v_mov_b32_e32 v5, v11
	ds_read2_b32 v[14:15], v14 offset0:92 offset1:202
	v_lshlrev_b64 v[0:1], 2, v[0:1]
	v_lshlrev_b64 v[12:13], 2, v[10:11]
	v_mov_b32_e32 v7, v11
	v_mov_b32_e32 v19, v11
	v_add_co_u32 v0, vcc_lo, s10, v0
	v_add_co_ci_u32_e32 v1, vcc_lo, s11, v1, vcc_lo
	v_lshlrev_b64 v[6:7], 2, v[6:7]
	v_add_co_u32 v0, vcc_lo, v0, v2
	v_add_co_ci_u32_e32 v1, vcc_lo, v1, v3, vcc_lo
	v_lshlrev_b64 v[2:3], 2, v[4:5]
	v_add_co_u32 v4, vcc_lo, v0, v12
	v_add_co_ci_u32_e32 v5, vcc_lo, v1, v13, vcc_lo
	v_add_nc_u32_e32 v12, 0x14a, v10
	v_add_co_u32 v2, vcc_lo, v0, v2
	v_add_co_ci_u32_e32 v3, vcc_lo, v1, v3, vcc_lo
	v_add_co_u32 v6, vcc_lo, v0, v6
	v_add_co_ci_u32_e32 v7, vcc_lo, v1, v7, vcc_lo
	v_mov_b32_e32 v13, v11
	s_waitcnt lgkmcnt(1)
	global_store_dword v[4:5], v8, off
	global_store_dword v[2:3], v9, off
	s_waitcnt lgkmcnt(0)
	global_store_dword v[6:7], v14, off
	v_add_nc_u32_e32 v8, 0x600, v20
	v_add_nc_u32_e32 v4, 0x1b8, v10
	v_mov_b32_e32 v5, v11
	v_lshlrev_b64 v[2:3], 2, v[12:13]
	v_add_nc_u32_e32 v13, 0xa00, v20
	ds_read2_b32 v[8:9], v8 offset0:56 offset1:166
	v_add_nc_u32_e32 v6, 0x226, v10
	v_mov_b32_e32 v7, v11
	v_lshlrev_b64 v[4:5], 2, v[4:5]
	ds_read2_b32 v[16:17], v13 offset0:20 offset1:130
	v_add_nc_u32_e32 v12, 0x294, v10
	v_mov_b32_e32 v13, v11
	v_add_co_u32 v2, vcc_lo, v0, v2
	v_lshlrev_b64 v[6:7], 2, v[6:7]
	v_add_co_ci_u32_e32 v3, vcc_lo, v1, v3, vcc_lo
	v_add_co_u32 v4, vcc_lo, v0, v4
	v_lshlrev_b64 v[12:13], 2, v[12:13]
	v_add_co_ci_u32_e32 v5, vcc_lo, v1, v5, vcc_lo
	v_add_co_u32 v6, vcc_lo, v0, v6
	v_add_co_ci_u32_e32 v7, vcc_lo, v1, v7, vcc_lo
	v_add_co_u32 v12, vcc_lo, v0, v12
	v_add_co_ci_u32_e32 v13, vcc_lo, v1, v13, vcc_lo
	global_store_dword v[2:3], v15, off
	s_waitcnt lgkmcnt(1)
	global_store_dword v[4:5], v8, off
	global_store_dword v[6:7], v9, off
	s_waitcnt lgkmcnt(0)
	global_store_dword v[12:13], v16, off
	v_add_nc_u32_e32 v4, 0x370, v10
	v_mov_b32_e32 v5, v11
	v_add_nc_u32_e32 v8, 0xc00, v20
	v_lshlrev_b64 v[2:3], 2, v[18:19]
	v_add_nc_u32_e32 v6, 0x3de, v10
	v_mov_b32_e32 v7, v11
	v_lshlrev_b64 v[4:5], 2, v[4:5]
	ds_read2_b32 v[8:9], v8 offset0:112 offset1:222
	v_add_nc_u32_e32 v12, 0x44c, v10
	v_mov_b32_e32 v13, v11
	v_add_co_u32 v2, vcc_lo, v0, v2
	v_lshlrev_b64 v[6:7], 2, v[6:7]
	ds_read_b32 v14, v20 offset:4400
	v_add_co_ci_u32_e32 v3, vcc_lo, v1, v3, vcc_lo
	v_add_co_u32 v4, vcc_lo, v0, v4
	v_lshlrev_b64 v[12:13], 2, v[12:13]
	v_add_co_ci_u32_e32 v5, vcc_lo, v1, v5, vcc_lo
	v_add_co_u32 v6, vcc_lo, v0, v6
	v_add_co_ci_u32_e32 v7, vcc_lo, v1, v7, vcc_lo
	v_add_co_u32 v12, vcc_lo, v0, v12
	v_add_co_ci_u32_e32 v13, vcc_lo, v1, v13, vcc_lo
	v_cmp_eq_u32_e32 vcc_lo, 0x6d, v10
	global_store_dword v[2:3], v17, off
	s_waitcnt lgkmcnt(1)
	global_store_dword v[4:5], v8, off
	global_store_dword v[6:7], v9, off
	s_waitcnt lgkmcnt(0)
	global_store_dword v[12:13], v14, off
	s_and_b32 exec_lo, exec_lo, vcc_lo
	s_cbranch_execz .LBB0_28
; %bb.27:
	ds_read_b32 v2, v11 offset:4840
	v_add_co_u32 v0, vcc_lo, 0x1000, v0
	v_add_co_ci_u32_e32 v1, vcc_lo, 0, v1, vcc_lo
	s_waitcnt lgkmcnt(0)
	global_store_dword v[0:1], v2, off offset:744
.LBB0_28:
	s_endpgm
	.section	.rodata,"a",@progbits
	.p2align	6, 0x0
	.amdhsa_kernel fft_rtc_back_len1210_factors_2_5_11_11_wgs_110_tpt_110_halfLds_half_op_CI_CI_unitstride_sbrr_R2C_dirReg
		.amdhsa_group_segment_fixed_size 0
		.amdhsa_private_segment_fixed_size 0
		.amdhsa_kernarg_size 104
		.amdhsa_user_sgpr_count 6
		.amdhsa_user_sgpr_private_segment_buffer 1
		.amdhsa_user_sgpr_dispatch_ptr 0
		.amdhsa_user_sgpr_queue_ptr 0
		.amdhsa_user_sgpr_kernarg_segment_ptr 1
		.amdhsa_user_sgpr_dispatch_id 0
		.amdhsa_user_sgpr_flat_scratch_init 0
		.amdhsa_user_sgpr_private_segment_size 0
		.amdhsa_wavefront_size32 1
		.amdhsa_uses_dynamic_stack 0
		.amdhsa_system_sgpr_private_segment_wavefront_offset 0
		.amdhsa_system_sgpr_workgroup_id_x 1
		.amdhsa_system_sgpr_workgroup_id_y 0
		.amdhsa_system_sgpr_workgroup_id_z 0
		.amdhsa_system_sgpr_workgroup_info 0
		.amdhsa_system_vgpr_workitem_id 0
		.amdhsa_next_free_vgpr 139
		.amdhsa_next_free_sgpr 27
		.amdhsa_reserve_vcc 1
		.amdhsa_reserve_flat_scratch 0
		.amdhsa_float_round_mode_32 0
		.amdhsa_float_round_mode_16_64 0
		.amdhsa_float_denorm_mode_32 3
		.amdhsa_float_denorm_mode_16_64 3
		.amdhsa_dx10_clamp 1
		.amdhsa_ieee_mode 1
		.amdhsa_fp16_overflow 0
		.amdhsa_workgroup_processor_mode 1
		.amdhsa_memory_ordered 1
		.amdhsa_forward_progress 0
		.amdhsa_shared_vgpr_count 0
		.amdhsa_exception_fp_ieee_invalid_op 0
		.amdhsa_exception_fp_denorm_src 0
		.amdhsa_exception_fp_ieee_div_zero 0
		.amdhsa_exception_fp_ieee_overflow 0
		.amdhsa_exception_fp_ieee_underflow 0
		.amdhsa_exception_fp_ieee_inexact 0
		.amdhsa_exception_int_div_zero 0
	.end_amdhsa_kernel
	.text
.Lfunc_end0:
	.size	fft_rtc_back_len1210_factors_2_5_11_11_wgs_110_tpt_110_halfLds_half_op_CI_CI_unitstride_sbrr_R2C_dirReg, .Lfunc_end0-fft_rtc_back_len1210_factors_2_5_11_11_wgs_110_tpt_110_halfLds_half_op_CI_CI_unitstride_sbrr_R2C_dirReg
                                        ; -- End function
	.section	.AMDGPU.csdata,"",@progbits
; Kernel info:
; codeLenInByte = 11148
; NumSgprs: 29
; NumVgprs: 139
; ScratchSize: 0
; MemoryBound: 0
; FloatMode: 240
; IeeeMode: 1
; LDSByteSize: 0 bytes/workgroup (compile time only)
; SGPRBlocks: 3
; VGPRBlocks: 17
; NumSGPRsForWavesPerEU: 29
; NumVGPRsForWavesPerEU: 139
; Occupancy: 7
; WaveLimiterHint : 1
; COMPUTE_PGM_RSRC2:SCRATCH_EN: 0
; COMPUTE_PGM_RSRC2:USER_SGPR: 6
; COMPUTE_PGM_RSRC2:TRAP_HANDLER: 0
; COMPUTE_PGM_RSRC2:TGID_X_EN: 1
; COMPUTE_PGM_RSRC2:TGID_Y_EN: 0
; COMPUTE_PGM_RSRC2:TGID_Z_EN: 0
; COMPUTE_PGM_RSRC2:TIDIG_COMP_CNT: 0
	.text
	.p2alignl 6, 3214868480
	.fill 48, 4, 3214868480
	.type	__hip_cuid_ff22cb59895d3f8d,@object ; @__hip_cuid_ff22cb59895d3f8d
	.section	.bss,"aw",@nobits
	.globl	__hip_cuid_ff22cb59895d3f8d
__hip_cuid_ff22cb59895d3f8d:
	.byte	0                               ; 0x0
	.size	__hip_cuid_ff22cb59895d3f8d, 1

	.ident	"AMD clang version 19.0.0git (https://github.com/RadeonOpenCompute/llvm-project roc-6.4.0 25133 c7fe45cf4b819c5991fe208aaa96edf142730f1d)"
	.section	".note.GNU-stack","",@progbits
	.addrsig
	.addrsig_sym __hip_cuid_ff22cb59895d3f8d
	.amdgpu_metadata
---
amdhsa.kernels:
  - .args:
      - .actual_access:  read_only
        .address_space:  global
        .offset:         0
        .size:           8
        .value_kind:     global_buffer
      - .offset:         8
        .size:           8
        .value_kind:     by_value
      - .actual_access:  read_only
        .address_space:  global
        .offset:         16
        .size:           8
        .value_kind:     global_buffer
      - .actual_access:  read_only
        .address_space:  global
        .offset:         24
        .size:           8
        .value_kind:     global_buffer
      - .actual_access:  read_only
        .address_space:  global
        .offset:         32
        .size:           8
        .value_kind:     global_buffer
      - .offset:         40
        .size:           8
        .value_kind:     by_value
      - .actual_access:  read_only
        .address_space:  global
        .offset:         48
        .size:           8
        .value_kind:     global_buffer
      - .actual_access:  read_only
        .address_space:  global
        .offset:         56
        .size:           8
        .value_kind:     global_buffer
      - .offset:         64
        .size:           4
        .value_kind:     by_value
      - .actual_access:  read_only
        .address_space:  global
        .offset:         72
        .size:           8
        .value_kind:     global_buffer
      - .actual_access:  read_only
        .address_space:  global
        .offset:         80
        .size:           8
        .value_kind:     global_buffer
      - .actual_access:  read_only
        .address_space:  global
        .offset:         88
        .size:           8
        .value_kind:     global_buffer
      - .actual_access:  write_only
        .address_space:  global
        .offset:         96
        .size:           8
        .value_kind:     global_buffer
    .group_segment_fixed_size: 0
    .kernarg_segment_align: 8
    .kernarg_segment_size: 104
    .language:       OpenCL C
    .language_version:
      - 2
      - 0
    .max_flat_workgroup_size: 110
    .name:           fft_rtc_back_len1210_factors_2_5_11_11_wgs_110_tpt_110_halfLds_half_op_CI_CI_unitstride_sbrr_R2C_dirReg
    .private_segment_fixed_size: 0
    .sgpr_count:     29
    .sgpr_spill_count: 0
    .symbol:         fft_rtc_back_len1210_factors_2_5_11_11_wgs_110_tpt_110_halfLds_half_op_CI_CI_unitstride_sbrr_R2C_dirReg.kd
    .uniform_work_group_size: 1
    .uses_dynamic_stack: false
    .vgpr_count:     139
    .vgpr_spill_count: 0
    .wavefront_size: 32
    .workgroup_processor_mode: 1
amdhsa.target:   amdgcn-amd-amdhsa--gfx1030
amdhsa.version:
  - 1
  - 2
...

	.end_amdgpu_metadata
